;; amdgpu-corpus repo=ROCm/rocFFT kind=compiled arch=gfx906 opt=O3
	.text
	.amdgcn_target "amdgcn-amd-amdhsa--gfx906"
	.amdhsa_code_object_version 6
	.protected	fft_rtc_fwd_len110_factors_2_5_11_wgs_198_tpt_11_sp_ip_CI_unitstride_sbrr_dirReg ; -- Begin function fft_rtc_fwd_len110_factors_2_5_11_wgs_198_tpt_11_sp_ip_CI_unitstride_sbrr_dirReg
	.globl	fft_rtc_fwd_len110_factors_2_5_11_wgs_198_tpt_11_sp_ip_CI_unitstride_sbrr_dirReg
	.p2align	8
	.type	fft_rtc_fwd_len110_factors_2_5_11_wgs_198_tpt_11_sp_ip_CI_unitstride_sbrr_dirReg,@function
fft_rtc_fwd_len110_factors_2_5_11_wgs_198_tpt_11_sp_ip_CI_unitstride_sbrr_dirReg: ; @fft_rtc_fwd_len110_factors_2_5_11_wgs_198_tpt_11_sp_ip_CI_unitstride_sbrr_dirReg
; %bb.0:
	s_load_dwordx2 s[2:3], s[4:5], 0x50
	s_load_dwordx4 s[8:11], s[4:5], 0x0
	s_load_dwordx2 s[12:13], s[4:5], 0x18
	v_mul_u32_u24_e32 v1, 0x1746, v0
	v_lshrrev_b32_e32 v1, 16, v1
	v_mad_u64_u32 v[1:2], s[0:1], s6, 18, v[1:2]
	v_mov_b32_e32 v5, 0
	s_waitcnt lgkmcnt(0)
	v_cmp_lt_u64_e64 s[0:1], s[10:11], 2
	v_mov_b32_e32 v2, v5
	v_mov_b32_e32 v3, 0
	;; [unrolled: 1-line block ×3, first 2 shown]
	s_and_b64 vcc, exec, s[0:1]
	v_mov_b32_e32 v4, 0
	v_mov_b32_e32 v9, v1
	s_cbranch_vccnz .LBB0_8
; %bb.1:
	s_load_dwordx2 s[0:1], s[4:5], 0x10
	s_add_u32 s6, s12, 8
	s_addc_u32 s7, s13, 0
	v_mov_b32_e32 v3, 0
	v_mov_b32_e32 v8, v2
	s_waitcnt lgkmcnt(0)
	s_add_u32 s16, s0, 8
	s_mov_b64 s[14:15], 1
	v_mov_b32_e32 v4, 0
	s_addc_u32 s17, s1, 0
	v_mov_b32_e32 v7, v1
.LBB0_2:                                ; =>This Inner Loop Header: Depth=1
	s_load_dwordx2 s[18:19], s[16:17], 0x0
                                        ; implicit-def: $vgpr9_vgpr10
	s_waitcnt lgkmcnt(0)
	v_or_b32_e32 v6, s19, v8
	v_cmp_ne_u64_e32 vcc, 0, v[5:6]
	s_and_saveexec_b64 s[0:1], vcc
	s_xor_b64 s[20:21], exec, s[0:1]
	s_cbranch_execz .LBB0_4
; %bb.3:                                ;   in Loop: Header=BB0_2 Depth=1
	v_cvt_f32_u32_e32 v2, s18
	v_cvt_f32_u32_e32 v6, s19
	s_sub_u32 s0, 0, s18
	s_subb_u32 s1, 0, s19
	v_mac_f32_e32 v2, 0x4f800000, v6
	v_rcp_f32_e32 v2, v2
	v_mul_f32_e32 v2, 0x5f7ffffc, v2
	v_mul_f32_e32 v6, 0x2f800000, v2
	v_trunc_f32_e32 v6, v6
	v_mac_f32_e32 v2, 0xcf800000, v6
	v_cvt_u32_f32_e32 v6, v6
	v_cvt_u32_f32_e32 v2, v2
	v_mul_lo_u32 v9, s0, v6
	v_mul_hi_u32 v10, s0, v2
	v_mul_lo_u32 v12, s1, v2
	v_mul_lo_u32 v11, s0, v2
	v_add_u32_e32 v9, v10, v9
	v_add_u32_e32 v9, v9, v12
	v_mul_hi_u32 v10, v2, v11
	v_mul_lo_u32 v12, v2, v9
	v_mul_hi_u32 v14, v2, v9
	v_mul_hi_u32 v13, v6, v11
	v_mul_lo_u32 v11, v6, v11
	v_mul_hi_u32 v15, v6, v9
	v_add_co_u32_e32 v10, vcc, v10, v12
	v_addc_co_u32_e32 v12, vcc, 0, v14, vcc
	v_mul_lo_u32 v9, v6, v9
	v_add_co_u32_e32 v10, vcc, v10, v11
	v_addc_co_u32_e32 v10, vcc, v12, v13, vcc
	v_addc_co_u32_e32 v11, vcc, 0, v15, vcc
	v_add_co_u32_e32 v9, vcc, v10, v9
	v_addc_co_u32_e32 v10, vcc, 0, v11, vcc
	v_add_co_u32_e32 v2, vcc, v2, v9
	v_addc_co_u32_e32 v6, vcc, v6, v10, vcc
	v_mul_lo_u32 v9, s0, v6
	v_mul_hi_u32 v10, s0, v2
	v_mul_lo_u32 v11, s1, v2
	v_mul_lo_u32 v12, s0, v2
	v_add_u32_e32 v9, v10, v9
	v_add_u32_e32 v9, v9, v11
	v_mul_lo_u32 v13, v2, v9
	v_mul_hi_u32 v14, v2, v12
	v_mul_hi_u32 v15, v2, v9
	;; [unrolled: 1-line block ×3, first 2 shown]
	v_mul_lo_u32 v12, v6, v12
	v_mul_hi_u32 v10, v6, v9
	v_add_co_u32_e32 v13, vcc, v14, v13
	v_addc_co_u32_e32 v14, vcc, 0, v15, vcc
	v_mul_lo_u32 v9, v6, v9
	v_add_co_u32_e32 v12, vcc, v13, v12
	v_addc_co_u32_e32 v11, vcc, v14, v11, vcc
	v_addc_co_u32_e32 v10, vcc, 0, v10, vcc
	v_add_co_u32_e32 v9, vcc, v11, v9
	v_addc_co_u32_e32 v10, vcc, 0, v10, vcc
	v_add_co_u32_e32 v2, vcc, v2, v9
	v_addc_co_u32_e32 v6, vcc, v6, v10, vcc
	v_mad_u64_u32 v[9:10], s[0:1], v7, v6, 0
	v_mul_hi_u32 v11, v7, v2
	v_add_co_u32_e32 v13, vcc, v11, v9
	v_addc_co_u32_e32 v14, vcc, 0, v10, vcc
	v_mad_u64_u32 v[9:10], s[0:1], v8, v2, 0
	v_mad_u64_u32 v[11:12], s[0:1], v8, v6, 0
	v_add_co_u32_e32 v2, vcc, v13, v9
	v_addc_co_u32_e32 v2, vcc, v14, v10, vcc
	v_addc_co_u32_e32 v6, vcc, 0, v12, vcc
	v_add_co_u32_e32 v2, vcc, v2, v11
	v_addc_co_u32_e32 v6, vcc, 0, v6, vcc
	v_mul_lo_u32 v11, s19, v2
	v_mul_lo_u32 v12, s18, v6
	v_mad_u64_u32 v[9:10], s[0:1], s18, v2, 0
	v_add3_u32 v10, v10, v12, v11
	v_sub_u32_e32 v11, v8, v10
	v_mov_b32_e32 v12, s19
	v_sub_co_u32_e32 v9, vcc, v7, v9
	v_subb_co_u32_e64 v11, s[0:1], v11, v12, vcc
	v_subrev_co_u32_e64 v12, s[0:1], s18, v9
	v_subbrev_co_u32_e64 v11, s[0:1], 0, v11, s[0:1]
	v_cmp_le_u32_e64 s[0:1], s19, v11
	v_cndmask_b32_e64 v13, 0, -1, s[0:1]
	v_cmp_le_u32_e64 s[0:1], s18, v12
	v_cndmask_b32_e64 v12, 0, -1, s[0:1]
	v_cmp_eq_u32_e64 s[0:1], s19, v11
	v_cndmask_b32_e64 v11, v13, v12, s[0:1]
	v_add_co_u32_e64 v12, s[0:1], 2, v2
	v_addc_co_u32_e64 v13, s[0:1], 0, v6, s[0:1]
	v_add_co_u32_e64 v14, s[0:1], 1, v2
	v_addc_co_u32_e64 v15, s[0:1], 0, v6, s[0:1]
	v_subb_co_u32_e32 v10, vcc, v8, v10, vcc
	v_cmp_ne_u32_e64 s[0:1], 0, v11
	v_cmp_le_u32_e32 vcc, s19, v10
	v_cndmask_b32_e64 v11, v15, v13, s[0:1]
	v_cndmask_b32_e64 v13, 0, -1, vcc
	v_cmp_le_u32_e32 vcc, s18, v9
	v_cndmask_b32_e64 v9, 0, -1, vcc
	v_cmp_eq_u32_e32 vcc, s19, v10
	v_cndmask_b32_e32 v9, v13, v9, vcc
	v_cmp_ne_u32_e32 vcc, 0, v9
	v_cndmask_b32_e32 v10, v6, v11, vcc
	v_cndmask_b32_e64 v6, v14, v12, s[0:1]
	v_cndmask_b32_e32 v9, v2, v6, vcc
.LBB0_4:                                ;   in Loop: Header=BB0_2 Depth=1
	s_andn2_saveexec_b64 s[0:1], s[20:21]
	s_cbranch_execz .LBB0_6
; %bb.5:                                ;   in Loop: Header=BB0_2 Depth=1
	v_cvt_f32_u32_e32 v2, s18
	s_sub_i32 s20, 0, s18
	v_rcp_iflag_f32_e32 v2, v2
	v_mul_f32_e32 v2, 0x4f7ffffe, v2
	v_cvt_u32_f32_e32 v2, v2
	v_mul_lo_u32 v6, s20, v2
	v_mul_hi_u32 v6, v2, v6
	v_add_u32_e32 v2, v2, v6
	v_mul_hi_u32 v2, v7, v2
	v_mul_lo_u32 v6, v2, s18
	v_add_u32_e32 v9, 1, v2
	v_sub_u32_e32 v6, v7, v6
	v_subrev_u32_e32 v10, s18, v6
	v_cmp_le_u32_e32 vcc, s18, v6
	v_cndmask_b32_e32 v6, v6, v10, vcc
	v_cndmask_b32_e32 v2, v2, v9, vcc
	v_add_u32_e32 v9, 1, v2
	v_cmp_le_u32_e32 vcc, s18, v6
	v_cndmask_b32_e32 v9, v2, v9, vcc
	v_mov_b32_e32 v10, v5
.LBB0_6:                                ;   in Loop: Header=BB0_2 Depth=1
	s_or_b64 exec, exec, s[0:1]
	v_mul_lo_u32 v2, v10, s18
	v_mul_lo_u32 v6, v9, s19
	v_mad_u64_u32 v[11:12], s[0:1], v9, s18, 0
	s_load_dwordx2 s[0:1], s[6:7], 0x0
	s_add_u32 s14, s14, 1
	v_add3_u32 v2, v12, v6, v2
	v_sub_co_u32_e32 v6, vcc, v7, v11
	v_subb_co_u32_e32 v2, vcc, v8, v2, vcc
	s_waitcnt lgkmcnt(0)
	v_mul_lo_u32 v2, s0, v2
	v_mul_lo_u32 v7, s1, v6
	v_mad_u64_u32 v[3:4], s[0:1], s0, v6, v[3:4]
	s_addc_u32 s15, s15, 0
	s_add_u32 s6, s6, 8
	v_add3_u32 v4, v7, v4, v2
	v_mov_b32_e32 v6, s10
	v_mov_b32_e32 v7, s11
	s_addc_u32 s7, s7, 0
	v_cmp_ge_u64_e32 vcc, s[14:15], v[6:7]
	s_add_u32 s16, s16, 8
	s_addc_u32 s17, s17, 0
	s_cbranch_vccnz .LBB0_8
; %bb.7:                                ;   in Loop: Header=BB0_2 Depth=1
	v_mov_b32_e32 v7, v9
	v_mov_b32_e32 v8, v10
	s_branch .LBB0_2
.LBB0_8:
	s_lshl_b64 s[0:1], s[10:11], 3
	s_add_u32 s0, s12, s0
	s_addc_u32 s1, s13, s1
	s_load_dwordx2 s[6:7], s[0:1], 0x0
	s_load_dwordx2 s[10:11], s[4:5], 0x20
                                        ; implicit-def: $vgpr21
                                        ; implicit-def: $vgpr19
                                        ; implicit-def: $vgpr7
                                        ; implicit-def: $vgpr17
	s_waitcnt lgkmcnt(0)
	v_mad_u64_u32 v[2:3], s[0:1], s6, v9, v[3:4]
	s_mov_b32 s0, 0x1745d175
	v_mul_hi_u32 v4, v0, s0
	v_mul_lo_u32 v5, s6, v10
	v_mul_lo_u32 v6, s7, v9
	v_cmp_gt_u64_e32 vcc, s[10:11], v[9:10]
	v_mul_u32_u24_e32 v4, 11, v4
	v_sub_u32_e32 v22, v0, v4
	v_add3_u32 v3, v6, v3, v5
	v_mov_b32_e32 v4, 0
	v_mov_b32_e32 v5, 0
	v_lshlrev_b64 v[24:25], 3, v[2:3]
	v_mov_b32_e32 v13, v5
	v_mov_b32_e32 v9, v5
	;; [unrolled: 1-line block ×8, first 2 shown]
                                        ; implicit-def: $vgpr3
	s_and_saveexec_b64 s[4:5], vcc
	s_cbranch_execz .LBB0_10
; %bb.9:
	v_mov_b32_e32 v23, 0
	v_mov_b32_e32 v0, s3
	v_add_co_u32_e64 v4, s[0:1], s2, v24
	v_lshlrev_b64 v[2:3], 3, v[22:23]
	v_addc_co_u32_e64 v0, s[0:1], v0, v25, s[0:1]
	v_add_co_u32_e64 v26, s[0:1], v4, v2
	v_addc_co_u32_e64 v27, s[0:1], v0, v3, s[0:1]
	global_load_dwordx2 v[2:3], v[26:27], off offset:616
	global_load_dwordx2 v[4:5], v[26:27], off
	global_load_dwordx2 v[12:13], v[26:27], off offset:88
	global_load_dwordx2 v[8:9], v[26:27], off offset:176
	global_load_dwordx2 v[10:11], v[26:27], off offset:264
	global_load_dwordx2 v[18:19], v[26:27], off offset:528
	global_load_dwordx2 v[20:21], v[26:27], off offset:440
	global_load_dwordx2 v[14:15], v[26:27], off offset:352
	global_load_dwordx2 v[16:17], v[26:27], off offset:704
	global_load_dwordx2 v[6:7], v[26:27], off offset:792
.LBB0_10:
	s_or_b64 exec, exec, s[4:5]
	s_mov_b32 s0, 0x38e38e39
	v_mul_hi_u32 v0, v1, s0
	s_waitcnt vmcnt(3)
	v_sub_f32_e32 v20, v4, v20
	v_sub_f32_e32 v21, v5, v21
	;; [unrolled: 1-line block ×3, first 2 shown]
	v_lshrrev_b32_e32 v0, 2, v0
	v_mul_lo_u32 v0, v0, 18
	v_sub_f32_e32 v19, v13, v19
	v_fma_f32 v4, v4, 2.0, -v20
	v_fma_f32 v5, v5, 2.0, -v21
	v_sub_u32_e32 v0, v1, v0
	v_mul_u32_u24_e32 v0, 0x6e, v0
	v_lshlrev_b32_e32 v23, 3, v0
	v_add_u32_e32 v42, 0, v23
	v_lshl_add_u32 v26, v22, 4, v42
	v_sub_f32_e32 v2, v8, v2
	v_sub_f32_e32 v3, v9, v3
	s_waitcnt vmcnt(0)
	v_sub_f32_e32 v6, v14, v6
	v_add_u32_e32 v43, 11, v22
	ds_write2_b64 v26, v[4:5], v[20:21] offset1:1
	v_fma_f32 v0, v12, 2.0, -v18
	v_fma_f32 v1, v13, 2.0, -v19
	;; [unrolled: 1-line block ×4, first 2 shown]
	v_sub_f32_e32 v8, v10, v16
	v_sub_f32_e32 v9, v11, v17
	;; [unrolled: 1-line block ×3, first 2 shown]
	v_fma_f32 v12, v14, 2.0, -v6
	v_lshl_add_u32 v14, v43, 4, v42
	v_and_b32_e32 v44, 1, v22
	v_and_b32_e32 v45, 1, v43
	v_fma_f32 v10, v10, 2.0, -v8
	v_fma_f32 v11, v11, 2.0, -v9
	;; [unrolled: 1-line block ×3, first 2 shown]
	ds_write2_b64 v14, v[0:1], v[18:19] offset1:1
	ds_write2_b64 v26, v[4:5], v[2:3] offset0:44 offset1:45
	ds_write2_b64 v26, v[10:11], v[8:9] offset0:66 offset1:67
	;; [unrolled: 1-line block ×3, first 2 shown]
	v_lshlrev_b32_e32 v0, 5, v44
	v_lshlrev_b32_e32 v1, 5, v45
	s_waitcnt lgkmcnt(0)
	s_barrier
	global_load_dwordx4 v[8:11], v0, s[8:9] offset:16
	global_load_dwordx4 v[12:15], v1, s[8:9] offset:16
	global_load_dwordx4 v[18:21], v1, s[8:9]
	global_load_dwordx4 v[26:29], v0, s[8:9]
	v_lshlrev_b32_e32 v0, 3, v22
	v_add3_u32 v16, 0, v0, v23
	v_add_u32_e32 v17, v42, v0
	ds_read2_b64 v[30:33], v16 offset0:66 offset1:77
	ds_read2_b64 v[34:37], v16 offset0:88 offset1:99
	ds_read2_b32 v[2:3], v16 offset0:66 offset1:67
	ds_read2_b64 v[38:41], v16 offset0:44 offset1:55
	ds_read2_b64 v[4:7], v16 offset0:11 offset1:22
	ds_read_b64 v[0:1], v17
	s_waitcnt vmcnt(0) lgkmcnt(0)
	s_barrier
	v_cmp_gt_u32_e64 s[0:1], 10, v22
	v_mul_f32_e32 v47, v33, v13
	v_mul_f32_e32 v23, v9, v31
	;; [unrolled: 1-line block ×11, first 2 shown]
	v_fma_f32 v23, v8, v30, -v23
	v_fma_f32 v30, v10, v34, -v46
	v_fmac_f32_e32 v11, v10, v35
	v_fma_f32 v10, v28, v38, -v51
	v_mul_f32_e32 v19, v19, v2
	v_mul_f32_e32 v53, v27, v6
	v_fmac_f32_e32 v9, v8, v31
	v_fma_f32 v31, v32, v12, -v47
	v_fmac_f32_e32 v48, v33, v12
	v_fma_f32 v32, v18, v2, -v15
	v_fma_f32 v12, v26, v6, -v52
	v_add_f32_e32 v2, v10, v23
	v_mul_f32_e32 v29, v29, v38
	v_fmac_f32_e32 v19, v3, v18
	v_fmac_f32_e32 v53, v26, v7
	v_sub_f32_e32 v3, v12, v10
	v_sub_f32_e32 v6, v30, v23
	v_fma_f32 v2, -0.5, v2, v0
	v_fmac_f32_e32 v29, v28, v39
	v_sub_f32_e32 v7, v53, v11
	v_add_f32_e32 v3, v3, v6
	v_mov_b32_e32 v6, v2
	v_fma_f32 v13, v36, v14, -v13
	v_fmac_f32_e32 v49, v37, v14
	v_sub_f32_e32 v14, v29, v9
	v_fmac_f32_e32 v2, 0xbf737871, v7
	v_fmac_f32_e32 v6, 0x3f737871, v7
	;; [unrolled: 1-line block ×6, first 2 shown]
	v_add_f32_e32 v3, v12, v30
	v_add_f32_e32 v15, v0, v12
	v_fma_f32 v0, -0.5, v3, v0
	v_sub_f32_e32 v3, v10, v12
	v_sub_f32_e32 v8, v23, v30
	v_add_f32_e32 v3, v3, v8
	v_mov_b32_e32 v8, v0
	v_fmac_f32_e32 v8, 0xbf737871, v14
	v_fmac_f32_e32 v0, 0x3f737871, v14
	;; [unrolled: 1-line block ×6, first 2 shown]
	v_add_f32_e32 v3, v15, v10
	v_add_f32_e32 v7, v1, v53
	;; [unrolled: 1-line block ×8, first 2 shown]
	v_fma_f32 v3, -0.5, v3, v1
	v_sub_f32_e32 v7, v53, v29
	v_sub_f32_e32 v14, v11, v9
	;; [unrolled: 1-line block ×3, first 2 shown]
	v_add_f32_e32 v14, v7, v14
	v_mov_b32_e32 v7, v3
	v_sub_f32_e32 v10, v10, v23
	v_fmac_f32_e32 v7, 0xbf737871, v12
	v_fmac_f32_e32 v3, 0x3f737871, v12
	;; [unrolled: 1-line block ×6, first 2 shown]
	v_add_f32_e32 v14, v53, v11
	v_fmac_f32_e32 v1, -0.5, v14
	v_sub_f32_e32 v14, v29, v53
	v_sub_f32_e32 v9, v9, v11
	v_mul_f32_e32 v50, v41, v21
	v_add_f32_e32 v11, v14, v9
	v_mov_b32_e32 v9, v1
	v_fma_f32 v33, v40, v20, -v50
	v_fmac_f32_e32 v9, 0x3f737871, v10
	v_fmac_f32_e32 v1, 0xbf737871, v10
	v_fmac_f32_e32 v9, 0xbf167918, v12
	v_fmac_f32_e32 v1, 0x3f167918, v12
	v_add_f32_e32 v12, v33, v31
	v_mul_f32_e32 v21, v40, v21
	v_fma_f32 v14, -0.5, v12, v4
	v_fmac_f32_e32 v21, v41, v20
	v_mov_b32_e32 v12, v14
	v_sub_f32_e32 v15, v19, v49
	v_fmac_f32_e32 v9, 0x3e9e377a, v11
	v_fmac_f32_e32 v1, 0x3e9e377a, v11
	v_sub_f32_e32 v10, v32, v33
	v_sub_f32_e32 v11, v13, v31
	v_fmac_f32_e32 v12, 0x3f737871, v15
	v_sub_f32_e32 v20, v21, v48
	v_fmac_f32_e32 v14, 0xbf737871, v15
	v_add_f32_e32 v11, v10, v11
	v_fmac_f32_e32 v12, 0x3f167918, v20
	v_fmac_f32_e32 v14, 0xbf167918, v20
	;; [unrolled: 1-line block ×4, first 2 shown]
	v_add_f32_e32 v11, v32, v13
	v_add_f32_e32 v10, v4, v32
	v_fma_f32 v4, -0.5, v11, v4
	v_sub_f32_e32 v11, v33, v32
	v_sub_f32_e32 v18, v31, v13
	v_add_f32_e32 v11, v11, v18
	v_mov_b32_e32 v18, v4
	v_add_f32_e32 v10, v10, v33
	v_fmac_f32_e32 v18, 0xbf737871, v20
	v_fmac_f32_e32 v4, 0x3f737871, v20
	v_add_f32_e32 v10, v10, v31
	v_fmac_f32_e32 v18, 0x3f167918, v15
	v_fmac_f32_e32 v4, 0xbf167918, v15
	v_add_f32_e32 v15, v21, v48
	v_add_f32_e32 v10, v10, v13
	v_fma_f32 v15, -0.5, v15, v5
	v_sub_f32_e32 v20, v32, v13
	v_sub_f32_e32 v13, v19, v21
	;; [unrolled: 1-line block ×3, first 2 shown]
	v_add_f32_e32 v28, v13, v28
	v_mov_b32_e32 v13, v15
	v_sub_f32_e32 v23, v33, v31
	v_fmac_f32_e32 v13, 0xbf737871, v20
	v_fmac_f32_e32 v15, 0x3f737871, v20
	;; [unrolled: 1-line block ×6, first 2 shown]
	v_add_f32_e32 v11, v5, v19
	v_fmac_f32_e32 v13, 0x3e9e377a, v28
	v_fmac_f32_e32 v15, 0x3e9e377a, v28
	v_add_f32_e32 v28, v19, v49
	v_add_f32_e32 v11, v11, v21
	v_fmac_f32_e32 v5, -0.5, v28
	v_sub_f32_e32 v19, v21, v19
	v_sub_f32_e32 v21, v48, v49
	v_add_f32_e32 v21, v19, v21
	v_mov_b32_e32 v19, v5
	v_fmac_f32_e32 v19, 0x3f737871, v23
	v_fmac_f32_e32 v5, 0xbf737871, v23
	;; [unrolled: 1-line block ×4, first 2 shown]
	v_lshrrev_b32_e32 v20, 1, v22
	v_mul_u32_u24_e32 v20, 10, v20
	v_or_b32_e32 v20, v20, v44
	v_lshl_add_u32 v20, v20, 3, v42
	ds_write2_b64 v20, v[26:27], v[6:7] offset1:2
	ds_write2_b64 v20, v[8:9], v[0:1] offset0:4 offset1:6
	ds_write_b64 v20, v[2:3] offset:64
	v_lshrrev_b32_e32 v20, 1, v43
	v_mul_u32_u24_e32 v20, 10, v20
	v_add_f32_e32 v11, v11, v48
	v_or_b32_e32 v20, v20, v45
	v_add_f32_e32 v11, v11, v49
	v_fmac_f32_e32 v19, 0x3e9e377a, v21
	v_fmac_f32_e32 v5, 0x3e9e377a, v21
	v_lshl_add_u32 v20, v20, 3, v42
	ds_write2_b64 v20, v[10:11], v[12:13] offset1:2
	ds_write2_b64 v20, v[18:19], v[4:5] offset0:4 offset1:6
	ds_write_b64 v20, v[14:15] offset:64
	s_waitcnt lgkmcnt(0)
	s_barrier
	s_and_saveexec_b64 s[4:5], s[0:1]
	s_cbranch_execnz .LBB0_13
; %bb.11:
	s_or_b64 exec, exec, s[4:5]
	s_and_b64 s[0:1], vcc, s[0:1]
	s_and_saveexec_b64 s[4:5], s[0:1]
	s_cbranch_execnz .LBB0_14
.LBB0_12:
	s_endpgm
.LBB0_13:
	ds_read_b64 v[26:27], v17
	ds_read2_b64 v[6:9], v16 offset0:10 offset1:20
	ds_read2_b64 v[0:3], v16 offset0:30 offset1:40
	;; [unrolled: 1-line block ×5, first 2 shown]
	s_waitcnt lgkmcnt(2)
	v_mov_b32_e32 v5, v21
	v_mov_b32_e32 v4, v20
	s_or_b64 exec, exec, s[4:5]
	s_and_b64 s[0:1], vcc, s[0:1]
	s_and_saveexec_b64 s[4:5], s[0:1]
	s_cbranch_execz .LBB0_12
.LBB0_14:
	v_mul_u32_u24_e32 v20, 10, v22
	v_lshlrev_b32_e32 v20, 3, v20
	global_load_dwordx4 v[28:31], v20, s[8:9] offset:64
	global_load_dwordx4 v[32:35], v20, s[8:9] offset:128
	;; [unrolled: 1-line block ×5, first 2 shown]
	s_mov_b32 s0, 0xbf75a155
	s_mov_b32 s6, 0x3f575c64
	;; [unrolled: 1-line block ×5, first 2 shown]
	v_add_co_u32_e32 v24, vcc, s2, v24
	s_waitcnt vmcnt(4)
	v_mul_f32_e32 v20, v7, v28
	s_waitcnt vmcnt(3) lgkmcnt(0)
	v_mul_f32_e32 v23, v17, v34
	v_mul_f32_e32 v21, v9, v30
	;; [unrolled: 1-line block ×4, first 2 shown]
	v_fmac_f32_e32 v20, v6, v29
	v_fmac_f32_e32 v23, v16, v35
	v_mul_f32_e32 v7, v7, v29
	v_mul_f32_e32 v9, v9, v31
	v_mul_f32_e32 v17, v17, v35
	s_waitcnt vmcnt(2)
	v_mul_f32_e32 v49, v1, v36
	s_waitcnt vmcnt(1)
	v_mul_f32_e32 v51, v5, v42
	v_mul_f32_e32 v52, v19, v40
	;; [unrolled: 1-line block ×3, first 2 shown]
	s_waitcnt vmcnt(0)
	v_mul_f32_e32 v54, v11, v44
	v_mul_f32_e32 v11, v11, v45
	v_fmac_f32_e32 v21, v8, v31
	v_fmac_f32_e32 v48, v14, v33
	v_fma_f32 v14, v14, v32, -v15
	v_add_f32_e32 v32, v23, v20
	v_sub_f32_e32 v35, v20, v23
	v_mul_f32_e32 v1, v1, v37
	v_mul_f32_e32 v50, v3, v38
	;; [unrolled: 1-line block ×5, first 2 shown]
	v_fma_f32 v28, v6, v28, -v7
	v_fma_f32 v29, v8, v30, -v9
	;; [unrolled: 1-line block ×3, first 2 shown]
	v_fmac_f32_e32 v49, v0, v37
	v_fmac_f32_e32 v51, v4, v43
	;; [unrolled: 1-line block ×3, first 2 shown]
	v_fma_f32 v18, v18, v40, -v19
	v_fmac_f32_e32 v54, v10, v45
	v_fma_f32 v19, v10, v44, -v11
	v_add_f32_e32 v33, v48, v21
	v_sub_f32_e32 v37, v21, v48
	v_mul_f32_e32 v8, 0xbe11bafb, v32
	v_mul_f32_e32 v10, 0xbf7d64f0, v35
	v_mul_f32_e32 v5, v5, v43
	v_fma_f32 v15, v0, v36, -v1
	v_fmac_f32_e32 v50, v2, v39
	v_fma_f32 v17, v2, v38, -v3
	v_fmac_f32_e32 v53, v12, v47
	v_fma_f32 v31, v12, v46, -v13
	v_sub_f32_e32 v12, v28, v16
	v_add_f32_e32 v34, v16, v28
	v_sub_f32_e32 v41, v49, v51
	v_mul_f32_e32 v9, 0xbf75a155, v33
	v_mul_f32_e32 v11, 0x3e903f40, v37
	v_mov_b32_e32 v0, v8
	v_mov_b32_e32 v2, v10
	v_fma_f32 v30, v4, v42, -v5
	v_sub_f32_e32 v13, v29, v14
	v_add_f32_e32 v36, v14, v29
	v_add_f32_e32 v38, v51, v49
	v_sub_f32_e32 v45, v50, v52
	v_mul_f32_e32 v47, 0x3f68dda4, v41
	v_mov_b32_e32 v1, v9
	v_mov_b32_e32 v3, v11
	v_fmac_f32_e32 v0, 0x3f7d64f0, v12
	v_fmac_f32_e32 v2, 0xbe11bafb, v34
	v_add_f32_e32 v40, v30, v15
	v_add_f32_e32 v42, v52, v50
	v_mul_f32_e32 v46, 0x3ed4b147, v38
	v_mul_f32_e32 v56, 0xbf0a6770, v45
	v_mov_b32_e32 v5, v47
	v_fmac_f32_e32 v1, 0xbe903f40, v13
	v_fmac_f32_e32 v3, 0xbf75a155, v36
	v_add_f32_e32 v0, v27, v0
	v_add_f32_e32 v2, v26, v2
	v_sub_f32_e32 v39, v15, v30
	v_add_f32_e32 v44, v18, v17
	v_mul_f32_e32 v55, 0x3f575c64, v42
	v_mov_b32_e32 v4, v46
	v_fmac_f32_e32 v5, 0x3ed4b147, v40
	v_add_f32_e32 v0, v0, v1
	v_add_f32_e32 v1, v2, v3
	v_mov_b32_e32 v2, v56
	v_add_f32_e32 v57, v53, v54
	v_sub_f32_e32 v43, v17, v18
	v_mov_b32_e32 v6, v55
	v_fmac_f32_e32 v4, 0xbf68dda4, v39
	v_add_f32_e32 v1, v1, v5
	v_fmac_f32_e32 v2, 0x3f575c64, v44
	v_mul_f32_e32 v58, 0xbf27a4f4, v57
	v_fmac_f32_e32 v6, 0x3f0a6770, v43
	v_add_f32_e32 v0, v0, v4
	v_add_f32_e32 v2, v1, v2
	v_sub_f32_e32 v59, v19, v31
	v_mov_b32_e32 v1, v58
	v_sub_f32_e32 v61, v54, v53
	v_add_f32_e32 v0, v0, v6
	v_fmac_f32_e32 v1, 0x3f4178ce, v59
	v_mul_f32_e32 v62, 0xbf4178ce, v61
	v_add_f32_e32 v1, v0, v1
	v_add_f32_e32 v60, v31, v19
	v_mov_b32_e32 v0, v62
	v_fmac_f32_e32 v0, 0xbf27a4f4, v60
	v_mul_f32_e32 v4, 0xbf75a155, v32
	v_add_f32_e32 v0, v2, v0
	v_mov_b32_e32 v2, v4
	v_mul_f32_e32 v5, 0x3f575c64, v33
	v_fmac_f32_e32 v2, 0x3e903f40, v12
	v_mov_b32_e32 v3, v5
	v_add_f32_e32 v2, v27, v2
	v_fmac_f32_e32 v3, 0xbf0a6770, v13
	v_mul_f32_e32 v6, 0xbf27a4f4, v38
	v_add_f32_e32 v2, v2, v3
	v_mov_b32_e32 v3, v6
	v_fmac_f32_e32 v3, 0x3f4178ce, v39
	v_mul_f32_e32 v7, 0x3ed4b147, v42
	v_add_f32_e32 v2, v2, v3
	v_mov_b32_e32 v3, v7
	;; [unrolled: 4-line block ×3, first 2 shown]
	v_mul_f32_e32 v64, 0x3f0a6770, v37
	v_fmac_f32_e32 v3, 0xbf75a155, v34
	v_mov_b32_e32 v65, v64
	v_add_f32_e32 v3, v26, v3
	v_fmac_f32_e32 v65, 0x3f575c64, v36
	v_add_f32_e32 v3, v3, v65
	v_mul_f32_e32 v65, 0xbf4178ce, v41
	v_mov_b32_e32 v66, v65
	v_fmac_f32_e32 v4, 0xbe903f40, v12
	v_fmac_f32_e32 v66, 0xbf27a4f4, v40
	v_add_f32_e32 v4, v27, v4
	v_fmac_f32_e32 v5, 0x3f0a6770, v13
	v_add_f32_e32 v3, v3, v66
	v_mul_f32_e32 v66, 0x3f68dda4, v45
	v_add_f32_e32 v4, v4, v5
	v_fmac_f32_e32 v6, 0xbf4178ce, v39
	v_fma_f32 v5, v34, s0, -v63
	v_mov_b32_e32 v67, v66
	v_add_f32_e32 v4, v4, v6
	v_add_f32_e32 v5, v26, v5
	v_fma_f32 v6, v36, s6, -v64
	v_fmac_f32_e32 v67, 0x3ed4b147, v44
	v_mul_f32_e32 v68, 0xbe11bafb, v57
	v_fmac_f32_e32 v7, 0x3f68dda4, v43
	v_add_f32_e32 v5, v5, v6
	v_fma_f32 v6, v40, s1, -v65
	v_add_f32_e32 v67, v3, v67
	v_mov_b32_e32 v3, v68
	v_mul_f32_e32 v69, 0xbf7d64f0, v61
	v_add_f32_e32 v4, v4, v7
	v_add_f32_e32 v5, v5, v6
	v_fma_f32 v6, v44, s4, -v66
	v_fmac_f32_e32 v68, 0xbf7d64f0, v59
	v_add_f32_e32 v6, v5, v6
	v_add_f32_e32 v5, v4, v68
	v_fma_f32 v4, v60, s5, -v69
	v_mul_f32_e32 v63, 0xbf4178ce, v12
	v_add_f32_e32 v4, v6, v4
	v_mov_b32_e32 v6, v63
	v_mul_f32_e32 v64, 0x3f7d64f0, v13
	v_fmac_f32_e32 v6, 0xbf27a4f4, v32
	v_mov_b32_e32 v7, v64
	v_fmac_f32_e32 v8, 0xbf7d64f0, v12
	v_add_f32_e32 v6, v27, v6
	v_fmac_f32_e32 v7, 0xbe11bafb, v33
	v_mul_f32_e32 v65, 0xbf0a6770, v39
	v_add_f32_e32 v8, v27, v8
	v_fmac_f32_e32 v9, 0x3e903f40, v13
	v_fmac_f32_e32 v3, 0x3f7d64f0, v59
	v_add_f32_e32 v6, v6, v7
	v_mov_b32_e32 v7, v65
	v_add_f32_e32 v8, v8, v9
	v_fma_f32 v9, v34, s5, -v10
	v_add_f32_e32 v20, v27, v20
	v_add_f32_e32 v3, v2, v3
	v_mov_b32_e32 v2, v69
	v_fmac_f32_e32 v7, 0x3f575c64, v38
	v_mul_f32_e32 v66, 0xbe903f40, v43
	v_fmac_f32_e32 v46, 0x3f68dda4, v39
	v_add_f32_e32 v9, v26, v9
	v_fma_f32 v10, v36, s0, -v11
	v_add_f32_e32 v20, v20, v21
	v_add_f32_e32 v21, v26, v28
	v_fmac_f32_e32 v2, 0xbe11bafb, v60
	v_add_f32_e32 v6, v6, v7
	v_mov_b32_e32 v7, v66
	v_add_f32_e32 v8, v8, v46
	v_fmac_f32_e32 v55, 0xbf0a6770, v43
	v_add_f32_e32 v9, v9, v10
	v_fma_f32 v10, v40, s4, -v47
	v_add_f32_e32 v21, v21, v29
	v_add_f32_e32 v2, v67, v2
	v_fmac_f32_e32 v7, 0xbf75a155, v42
	v_mul_f32_e32 v67, 0xbf4178ce, v35
	v_add_f32_e32 v8, v8, v55
	v_add_f32_e32 v9, v9, v10
	v_fma_f32 v10, v44, s6, -v56
	v_fmac_f32_e32 v58, 0xbf4178ce, v59
	v_add_f32_e32 v15, v21, v15
	v_add_f32_e32 v6, v6, v7
	v_fma_f32 v7, v34, s1, -v67
	v_mul_f32_e32 v68, 0x3f7d64f0, v37
	v_add_f32_e32 v10, v9, v10
	v_add_f32_e32 v9, v8, v58
	v_fma_f32 v8, v60, s1, -v62
	v_mul_f32_e32 v46, 0xbf68dda4, v12
	v_add_f32_e32 v15, v15, v17
	v_add_f32_e32 v7, v26, v7
	v_fma_f32 v69, v36, s5, -v68
	v_add_f32_e32 v8, v10, v8
	v_mov_b32_e32 v10, v46
	v_mul_f32_e32 v47, 0xbf4178ce, v13
	v_add_f32_e32 v15, v15, v19
	v_add_f32_e32 v7, v7, v69
	v_mul_f32_e32 v69, 0xbf0a6770, v41
	v_fmac_f32_e32 v10, 0x3ed4b147, v32
	v_mov_b32_e32 v11, v47
	v_add_f32_e32 v15, v31, v15
	v_fma_f32 v70, v40, s6, -v69
	v_add_f32_e32 v10, v27, v10
	v_fmac_f32_e32 v11, 0xbf27a4f4, v33
	v_mul_f32_e32 v55, 0x3e903f40, v39
	v_add_f32_e32 v15, v18, v15
	v_add_f32_e32 v7, v7, v70
	v_mul_f32_e32 v70, 0xbe903f40, v45
	v_add_f32_e32 v10, v10, v11
	v_mov_b32_e32 v11, v55
	v_add_f32_e32 v15, v30, v15
	v_fma_f32 v71, v44, s0, -v70
	v_mul_f32_e32 v72, 0x3f68dda4, v59
	v_fmac_f32_e32 v11, 0xbf75a155, v38
	v_mul_f32_e32 v56, 0x3f7d64f0, v43
	v_add_f32_e32 v14, v14, v15
	v_add_f32_e32 v71, v7, v71
	v_mov_b32_e32 v7, v72
	v_add_f32_e32 v10, v10, v11
	v_mov_b32_e32 v11, v56
	v_add_f32_e32 v14, v16, v14
	v_fma_f32 v16, v32, s1, -v63
	v_fmac_f32_e32 v7, 0x3ed4b147, v57
	v_mul_f32_e32 v73, 0x3f68dda4, v61
	v_fmac_f32_e32 v11, 0xbe11bafb, v42
	v_mul_f32_e32 v58, 0xbf68dda4, v35
	v_add_f32_e32 v16, v27, v16
	v_fma_f32 v17, v33, s5, -v64
	v_add_f32_e32 v7, v6, v7
	v_fma_f32 v6, v60, s4, -v73
	;; [unrolled: 2-line block ×3, first 2 shown]
	v_mul_f32_e32 v62, 0xbf4178ce, v37
	v_add_f32_e32 v16, v16, v17
	v_fma_f32 v17, v38, s6, -v65
	v_add_f32_e32 v6, v71, v6
	v_add_f32_e32 v11, v26, v11
	v_fma_f32 v71, v36, s1, -v62
	v_add_f32_e32 v16, v16, v17
	v_fma_f32 v17, v42, s0, -v66
	v_fmac_f32_e32 v67, 0xbf27a4f4, v34
	v_add_f32_e32 v11, v11, v71
	v_mul_f32_e32 v71, 0x3e903f40, v41
	v_add_f32_e32 v16, v16, v17
	v_add_f32_e32 v17, v26, v67
	v_fmac_f32_e32 v68, 0xbe11bafb, v36
	v_fma_f32 v74, v40, s0, -v71
	v_add_f32_e32 v17, v17, v68
	v_fmac_f32_e32 v69, 0x3f575c64, v40
	v_add_f32_e32 v11, v11, v74
	v_mul_f32_e32 v74, 0x3f7d64f0, v45
	v_add_f32_e32 v17, v17, v69
	v_fmac_f32_e32 v70, 0xbf75a155, v44
	v_fma_f32 v75, v44, s5, -v74
	v_mul_f32_e32 v76, 0x3f0a6770, v59
	v_add_f32_e32 v18, v17, v70
	v_fma_f32 v17, v57, s4, -v72
	v_fmac_f32_e32 v73, 0x3ed4b147, v60
	v_add_f32_e32 v75, v11, v75
	v_mov_b32_e32 v11, v76
	v_add_f32_e32 v20, v20, v49
	v_add_f32_e32 v17, v16, v17
	;; [unrolled: 1-line block ×3, first 2 shown]
	v_fma_f32 v18, v32, s4, -v46
	v_fmac_f32_e32 v11, 0x3f575c64, v57
	v_mul_f32_e32 v77, 0x3f0a6770, v61
	v_add_f32_e32 v20, v20, v50
	v_add_f32_e32 v18, v27, v18
	v_fma_f32 v19, v33, s1, -v47
	v_add_f32_e32 v11, v10, v11
	v_fma_f32 v10, v60, s6, -v77
	v_add_f32_e32 v20, v20, v54
	v_add_f32_e32 v18, v18, v19
	v_fma_f32 v19, v38, s0, -v55
	v_add_f32_e32 v10, v75, v10
	v_mul_f32_e32 v75, 0xbf0a6770, v12
	v_add_f32_e32 v20, v53, v20
	v_add_f32_e32 v18, v18, v19
	v_fma_f32 v19, v42, s5, -v56
	v_fmac_f32_e32 v58, 0x3ed4b147, v34
	v_mov_b32_e32 v12, v75
	v_mul_f32_e32 v78, 0xbf68dda4, v13
	v_add_f32_e32 v20, v52, v20
	v_add_f32_e32 v18, v18, v19
	;; [unrolled: 1-line block ×3, first 2 shown]
	v_fmac_f32_e32 v62, 0xbf27a4f4, v36
	v_fmac_f32_e32 v12, 0x3f575c64, v32
	v_mov_b32_e32 v13, v78
	v_add_f32_e32 v20, v51, v20
	v_add_f32_e32 v19, v19, v62
	v_fmac_f32_e32 v71, 0xbf75a155, v40
	v_add_f32_e32 v12, v27, v12
	v_fmac_f32_e32 v13, 0x3ed4b147, v33
	v_mul_f32_e32 v39, 0xbf7d64f0, v39
	v_add_f32_e32 v20, v48, v20
	v_add_f32_e32 v19, v19, v71
	v_fmac_f32_e32 v74, 0xbe11bafb, v44
	v_add_f32_e32 v12, v12, v13
	v_mov_b32_e32 v13, v39
	v_add_f32_e32 v15, v23, v20
	v_add_f32_e32 v20, v19, v74
	v_fma_f32 v19, v57, s6, -v76
	v_fmac_f32_e32 v77, 0x3f575c64, v60
	v_fmac_f32_e32 v13, 0xbe11bafb, v38
	v_mul_f32_e32 v43, 0xbf4178ce, v43
	v_add_f32_e32 v19, v18, v19
	v_add_f32_e32 v18, v20, v77
	v_fma_f32 v20, v32, s6, -v75
	v_add_f32_e32 v12, v12, v13
	v_mov_b32_e32 v13, v43
	v_add_f32_e32 v20, v27, v20
	v_fma_f32 v21, v33, s4, -v78
	v_fmac_f32_e32 v13, 0xbf27a4f4, v42
	v_mul_f32_e32 v35, 0xbf0a6770, v35
	v_add_f32_e32 v20, v20, v21
	v_fma_f32 v21, v38, s5, -v39
	v_add_f32_e32 v12, v12, v13
	v_fma_f32 v13, v34, s6, -v35
	v_mul_f32_e32 v37, 0xbf68dda4, v37
	v_mul_f32_e32 v59, 0xbe903f40, v59
	v_fmac_f32_e32 v35, 0x3f575c64, v34
	v_add_f32_e32 v20, v20, v21
	v_fma_f32 v21, v42, s1, -v43
	v_add_f32_e32 v13, v26, v13
	v_fma_f32 v79, v36, s4, -v37
	v_mul_f32_e32 v41, 0xbf7d64f0, v41
	v_add_f32_e32 v23, v26, v35
	v_add_f32_e32 v20, v20, v21
	v_fma_f32 v21, v57, s0, -v59
	v_fmac_f32_e32 v37, 0x3ed4b147, v36
	v_add_f32_e32 v13, v13, v79
	v_fma_f32 v79, v40, s5, -v41
	v_mul_f32_e32 v45, 0xbf4178ce, v45
	v_add_f32_e32 v21, v20, v21
	v_add_f32_e32 v20, v23, v37
	v_mov_b32_e32 v23, 0
	v_add_f32_e32 v13, v13, v79
	v_fma_f32 v79, v44, s1, -v45
	v_mov_b32_e32 v26, s3
	v_lshlrev_b64 v[22:23], 3, v[22:23]
	v_add_f32_e32 v79, v13, v79
	v_mov_b32_e32 v13, v59
	v_fmac_f32_e32 v41, 0xbe11bafb, v40
	v_addc_co_u32_e32 v25, vcc, v26, v25, vcc
	v_fmac_f32_e32 v13, 0xbf75a155, v57
	v_mul_f32_e32 v61, 0xbe903f40, v61
	v_add_f32_e32 v20, v20, v41
	v_fmac_f32_e32 v45, 0xbf27a4f4, v44
	v_add_co_u32_e32 v22, vcc, v24, v22
	v_add_f32_e32 v13, v12, v13
	v_fma_f32 v12, v60, s0, -v61
	v_add_f32_e32 v20, v20, v45
	v_fmac_f32_e32 v61, 0xbf75a155, v60
	v_addc_co_u32_e32 v23, vcc, v25, v23, vcc
	v_add_f32_e32 v12, v79, v12
	v_add_f32_e32 v20, v20, v61
	global_store_dwordx2 v[22:23], v[14:15], off
	global_store_dwordx2 v[22:23], v[12:13], off offset:80
	global_store_dwordx2 v[22:23], v[10:11], off offset:160
	;; [unrolled: 1-line block ×10, first 2 shown]
	s_endpgm
	.section	.rodata,"a",@progbits
	.p2align	6, 0x0
	.amdhsa_kernel fft_rtc_fwd_len110_factors_2_5_11_wgs_198_tpt_11_sp_ip_CI_unitstride_sbrr_dirReg
		.amdhsa_group_segment_fixed_size 0
		.amdhsa_private_segment_fixed_size 0
		.amdhsa_kernarg_size 88
		.amdhsa_user_sgpr_count 6
		.amdhsa_user_sgpr_private_segment_buffer 1
		.amdhsa_user_sgpr_dispatch_ptr 0
		.amdhsa_user_sgpr_queue_ptr 0
		.amdhsa_user_sgpr_kernarg_segment_ptr 1
		.amdhsa_user_sgpr_dispatch_id 0
		.amdhsa_user_sgpr_flat_scratch_init 0
		.amdhsa_user_sgpr_private_segment_size 0
		.amdhsa_uses_dynamic_stack 0
		.amdhsa_system_sgpr_private_segment_wavefront_offset 0
		.amdhsa_system_sgpr_workgroup_id_x 1
		.amdhsa_system_sgpr_workgroup_id_y 0
		.amdhsa_system_sgpr_workgroup_id_z 0
		.amdhsa_system_sgpr_workgroup_info 0
		.amdhsa_system_vgpr_workitem_id 0
		.amdhsa_next_free_vgpr 80
		.amdhsa_next_free_sgpr 22
		.amdhsa_reserve_vcc 1
		.amdhsa_reserve_flat_scratch 0
		.amdhsa_float_round_mode_32 0
		.amdhsa_float_round_mode_16_64 0
		.amdhsa_float_denorm_mode_32 3
		.amdhsa_float_denorm_mode_16_64 3
		.amdhsa_dx10_clamp 1
		.amdhsa_ieee_mode 1
		.amdhsa_fp16_overflow 0
		.amdhsa_exception_fp_ieee_invalid_op 0
		.amdhsa_exception_fp_denorm_src 0
		.amdhsa_exception_fp_ieee_div_zero 0
		.amdhsa_exception_fp_ieee_overflow 0
		.amdhsa_exception_fp_ieee_underflow 0
		.amdhsa_exception_fp_ieee_inexact 0
		.amdhsa_exception_int_div_zero 0
	.end_amdhsa_kernel
	.text
.Lfunc_end0:
	.size	fft_rtc_fwd_len110_factors_2_5_11_wgs_198_tpt_11_sp_ip_CI_unitstride_sbrr_dirReg, .Lfunc_end0-fft_rtc_fwd_len110_factors_2_5_11_wgs_198_tpt_11_sp_ip_CI_unitstride_sbrr_dirReg
                                        ; -- End function
	.section	.AMDGPU.csdata,"",@progbits
; Kernel info:
; codeLenInByte = 5064
; NumSgprs: 26
; NumVgprs: 80
; ScratchSize: 0
; MemoryBound: 0
; FloatMode: 240
; IeeeMode: 1
; LDSByteSize: 0 bytes/workgroup (compile time only)
; SGPRBlocks: 3
; VGPRBlocks: 19
; NumSGPRsForWavesPerEU: 26
; NumVGPRsForWavesPerEU: 80
; Occupancy: 3
; WaveLimiterHint : 1
; COMPUTE_PGM_RSRC2:SCRATCH_EN: 0
; COMPUTE_PGM_RSRC2:USER_SGPR: 6
; COMPUTE_PGM_RSRC2:TRAP_HANDLER: 0
; COMPUTE_PGM_RSRC2:TGID_X_EN: 1
; COMPUTE_PGM_RSRC2:TGID_Y_EN: 0
; COMPUTE_PGM_RSRC2:TGID_Z_EN: 0
; COMPUTE_PGM_RSRC2:TIDIG_COMP_CNT: 0
	.type	__hip_cuid_793795f9e3aa3a39,@object ; @__hip_cuid_793795f9e3aa3a39
	.section	.bss,"aw",@nobits
	.globl	__hip_cuid_793795f9e3aa3a39
__hip_cuid_793795f9e3aa3a39:
	.byte	0                               ; 0x0
	.size	__hip_cuid_793795f9e3aa3a39, 1

	.ident	"AMD clang version 19.0.0git (https://github.com/RadeonOpenCompute/llvm-project roc-6.4.0 25133 c7fe45cf4b819c5991fe208aaa96edf142730f1d)"
	.section	".note.GNU-stack","",@progbits
	.addrsig
	.addrsig_sym __hip_cuid_793795f9e3aa3a39
	.amdgpu_metadata
---
amdhsa.kernels:
  - .args:
      - .actual_access:  read_only
        .address_space:  global
        .offset:         0
        .size:           8
        .value_kind:     global_buffer
      - .offset:         8
        .size:           8
        .value_kind:     by_value
      - .actual_access:  read_only
        .address_space:  global
        .offset:         16
        .size:           8
        .value_kind:     global_buffer
      - .actual_access:  read_only
        .address_space:  global
        .offset:         24
        .size:           8
        .value_kind:     global_buffer
      - .offset:         32
        .size:           8
        .value_kind:     by_value
      - .actual_access:  read_only
        .address_space:  global
        .offset:         40
        .size:           8
        .value_kind:     global_buffer
      - .actual_access:  read_only
        .address_space:  global
        .offset:         48
        .size:           8
        .value_kind:     global_buffer
      - .offset:         56
        .size:           4
        .value_kind:     by_value
      - .actual_access:  read_only
        .address_space:  global
        .offset:         64
        .size:           8
        .value_kind:     global_buffer
      - .actual_access:  read_only
        .address_space:  global
        .offset:         72
        .size:           8
        .value_kind:     global_buffer
      - .address_space:  global
        .offset:         80
        .size:           8
        .value_kind:     global_buffer
    .group_segment_fixed_size: 0
    .kernarg_segment_align: 8
    .kernarg_segment_size: 88
    .language:       OpenCL C
    .language_version:
      - 2
      - 0
    .max_flat_workgroup_size: 198
    .name:           fft_rtc_fwd_len110_factors_2_5_11_wgs_198_tpt_11_sp_ip_CI_unitstride_sbrr_dirReg
    .private_segment_fixed_size: 0
    .sgpr_count:     26
    .sgpr_spill_count: 0
    .symbol:         fft_rtc_fwd_len110_factors_2_5_11_wgs_198_tpt_11_sp_ip_CI_unitstride_sbrr_dirReg.kd
    .uniform_work_group_size: 1
    .uses_dynamic_stack: false
    .vgpr_count:     80
    .vgpr_spill_count: 0
    .wavefront_size: 64
amdhsa.target:   amdgcn-amd-amdhsa--gfx906
amdhsa.version:
  - 1
  - 2
...

	.end_amdgpu_metadata
